;; amdgpu-corpus repo=ROCm/rocFFT kind=compiled arch=gfx950 opt=O3
	.text
	.amdgcn_target "amdgcn-amd-amdhsa--gfx950"
	.amdhsa_code_object_version 6
	.protected	fft_rtc_fwd_len810_factors_3_10_3_3_3_wgs_81_tpt_81_halfLds_dp_op_CI_CI_sbrr_dirReg ; -- Begin function fft_rtc_fwd_len810_factors_3_10_3_3_3_wgs_81_tpt_81_halfLds_dp_op_CI_CI_sbrr_dirReg
	.globl	fft_rtc_fwd_len810_factors_3_10_3_3_3_wgs_81_tpt_81_halfLds_dp_op_CI_CI_sbrr_dirReg
	.p2align	8
	.type	fft_rtc_fwd_len810_factors_3_10_3_3_3_wgs_81_tpt_81_halfLds_dp_op_CI_CI_sbrr_dirReg,@function
fft_rtc_fwd_len810_factors_3_10_3_3_3_wgs_81_tpt_81_halfLds_dp_op_CI_CI_sbrr_dirReg: ; @fft_rtc_fwd_len810_factors_3_10_3_3_3_wgs_81_tpt_81_halfLds_dp_op_CI_CI_sbrr_dirReg
; %bb.0:
	s_load_dwordx4 s[12:15], s[0:1], 0x18
	s_load_dwordx4 s[4:7], s[0:1], 0x0
	;; [unrolled: 1-line block ×3, first 2 shown]
	v_mul_u32_u24_e32 v1, 0x32a, v0
	v_add_u32_sdwa v6, s2, v1 dst_sel:DWORD dst_unused:UNUSED_PAD src0_sel:DWORD src1_sel:WORD_1
	s_waitcnt lgkmcnt(0)
	s_load_dwordx2 s[18:19], s[12:13], 0x0
	s_load_dwordx2 s[16:17], s[14:15], 0x0
	v_mov_b32_e32 v4, 0
	v_cmp_lt_u64_e64 s[2:3], s[6:7], 2
	v_mov_b32_e32 v7, v4
	s_and_b64 vcc, exec, s[2:3]
	v_mov_b64_e32 v[2:3], 0
	s_cbranch_vccnz .LBB0_8
; %bb.1:
	s_load_dwordx2 s[2:3], s[0:1], 0x10
	s_add_u32 s20, s14, 8
	s_addc_u32 s21, s15, 0
	s_add_u32 s22, s12, 8
	s_addc_u32 s23, s13, 0
	s_waitcnt lgkmcnt(0)
	s_add_u32 s24, s2, 8
	v_mov_b64_e32 v[2:3], 0
	s_addc_u32 s25, s3, 0
	s_mov_b64 s[26:27], 1
	v_mov_b64_e32 v[52:53], v[2:3]
.LBB0_2:                                ; =>This Inner Loop Header: Depth=1
	s_load_dwordx2 s[28:29], s[24:25], 0x0
                                        ; implicit-def: $vgpr54_vgpr55
	s_waitcnt lgkmcnt(0)
	v_or_b32_e32 v5, s29, v7
	v_cmp_ne_u64_e32 vcc, 0, v[4:5]
	s_and_saveexec_b64 s[2:3], vcc
	s_xor_b64 s[30:31], exec, s[2:3]
	s_cbranch_execz .LBB0_4
; %bb.3:                                ;   in Loop: Header=BB0_2 Depth=1
	v_cvt_f32_u32_e32 v1, s28
	v_cvt_f32_u32_e32 v5, s29
	s_sub_u32 s2, 0, s28
	s_subb_u32 s3, 0, s29
	v_fmac_f32_e32 v1, 0x4f800000, v5
	v_rcp_f32_e32 v1, v1
	s_nop 0
	v_mul_f32_e32 v1, 0x5f7ffffc, v1
	v_mul_f32_e32 v5, 0x2f800000, v1
	v_trunc_f32_e32 v5, v5
	v_fmac_f32_e32 v1, 0xcf800000, v5
	v_cvt_u32_f32_e32 v5, v5
	v_cvt_u32_f32_e32 v1, v1
	v_mul_lo_u32 v8, s2, v5
	v_mul_hi_u32 v10, s2, v1
	v_mul_lo_u32 v9, s3, v1
	v_add_u32_e32 v10, v10, v8
	v_mul_lo_u32 v12, s2, v1
	v_add_u32_e32 v13, v10, v9
	v_mul_hi_u32 v8, v1, v12
	v_mul_hi_u32 v11, v1, v13
	v_mul_lo_u32 v10, v1, v13
	v_mov_b32_e32 v9, v4
	v_lshl_add_u64 v[8:9], v[8:9], 0, v[10:11]
	v_mul_hi_u32 v11, v5, v12
	v_mul_lo_u32 v12, v5, v12
	v_add_co_u32_e32 v8, vcc, v8, v12
	v_mul_hi_u32 v10, v5, v13
	s_nop 0
	v_addc_co_u32_e32 v8, vcc, v9, v11, vcc
	v_mov_b32_e32 v9, v4
	s_nop 0
	v_addc_co_u32_e32 v11, vcc, 0, v10, vcc
	v_mul_lo_u32 v10, v5, v13
	v_lshl_add_u64 v[8:9], v[8:9], 0, v[10:11]
	v_add_co_u32_e32 v1, vcc, v1, v8
	v_mul_lo_u32 v10, s2, v1
	s_nop 0
	v_addc_co_u32_e32 v5, vcc, v5, v9, vcc
	v_mul_lo_u32 v8, s2, v5
	v_mul_hi_u32 v9, s2, v1
	v_add_u32_e32 v8, v9, v8
	v_mul_lo_u32 v9, s3, v1
	v_add_u32_e32 v12, v8, v9
	v_mul_hi_u32 v14, v5, v10
	v_mul_lo_u32 v15, v5, v10
	v_mul_hi_u32 v9, v1, v12
	v_mul_lo_u32 v8, v1, v12
	v_mul_hi_u32 v10, v1, v10
	v_mov_b32_e32 v11, v4
	v_lshl_add_u64 v[8:9], v[10:11], 0, v[8:9]
	v_add_co_u32_e32 v8, vcc, v8, v15
	v_mul_hi_u32 v13, v5, v12
	s_nop 0
	v_addc_co_u32_e32 v8, vcc, v9, v14, vcc
	v_mul_lo_u32 v10, v5, v12
	s_nop 0
	v_addc_co_u32_e32 v11, vcc, 0, v13, vcc
	v_mov_b32_e32 v9, v4
	v_lshl_add_u64 v[8:9], v[8:9], 0, v[10:11]
	v_add_co_u32_e32 v1, vcc, v1, v8
	v_mul_hi_u32 v10, v6, v1
	s_nop 0
	v_addc_co_u32_e32 v5, vcc, v5, v9, vcc
	v_mad_u64_u32 v[8:9], s[2:3], v6, v5, 0
	v_mov_b32_e32 v11, v4
	v_lshl_add_u64 v[8:9], v[10:11], 0, v[8:9]
	v_mad_u64_u32 v[12:13], s[2:3], v7, v1, 0
	v_add_co_u32_e32 v1, vcc, v8, v12
	v_mad_u64_u32 v[10:11], s[2:3], v7, v5, 0
	s_nop 0
	v_addc_co_u32_e32 v8, vcc, v9, v13, vcc
	v_mov_b32_e32 v9, v4
	s_nop 0
	v_addc_co_u32_e32 v11, vcc, 0, v11, vcc
	v_lshl_add_u64 v[8:9], v[8:9], 0, v[10:11]
	v_mul_lo_u32 v1, s29, v8
	v_mul_lo_u32 v5, s28, v9
	v_mad_u64_u32 v[10:11], s[2:3], s28, v8, 0
	v_add3_u32 v1, v11, v5, v1
	v_sub_u32_e32 v5, v7, v1
	v_mov_b32_e32 v11, s29
	v_sub_co_u32_e32 v14, vcc, v6, v10
	v_lshl_add_u64 v[12:13], v[8:9], 0, 1
	s_nop 0
	v_subb_co_u32_e64 v5, s[2:3], v5, v11, vcc
	v_subrev_co_u32_e64 v10, s[2:3], s28, v14
	v_subb_co_u32_e32 v1, vcc, v7, v1, vcc
	s_nop 0
	v_subbrev_co_u32_e64 v5, s[2:3], 0, v5, s[2:3]
	v_cmp_le_u32_e64 s[2:3], s29, v5
	v_cmp_le_u32_e32 vcc, s29, v1
	s_nop 0
	v_cndmask_b32_e64 v11, 0, -1, s[2:3]
	v_cmp_le_u32_e64 s[2:3], s28, v10
	s_nop 1
	v_cndmask_b32_e64 v10, 0, -1, s[2:3]
	v_cmp_eq_u32_e64 s[2:3], s29, v5
	s_nop 1
	v_cndmask_b32_e64 v5, v11, v10, s[2:3]
	v_lshl_add_u64 v[10:11], v[8:9], 0, 2
	v_cmp_ne_u32_e64 s[2:3], 0, v5
	s_nop 1
	v_cndmask_b32_e64 v5, v13, v11, s[2:3]
	v_cndmask_b32_e64 v11, 0, -1, vcc
	v_cmp_le_u32_e32 vcc, s28, v14
	s_nop 1
	v_cndmask_b32_e64 v13, 0, -1, vcc
	v_cmp_eq_u32_e32 vcc, s29, v1
	s_nop 1
	v_cndmask_b32_e32 v1, v11, v13, vcc
	v_cmp_ne_u32_e32 vcc, 0, v1
	v_cndmask_b32_e64 v1, v12, v10, s[2:3]
	s_nop 0
	v_cndmask_b32_e32 v55, v9, v5, vcc
	v_cndmask_b32_e32 v54, v8, v1, vcc
.LBB0_4:                                ;   in Loop: Header=BB0_2 Depth=1
	s_andn2_saveexec_b64 s[2:3], s[30:31]
	s_cbranch_execz .LBB0_6
; %bb.5:                                ;   in Loop: Header=BB0_2 Depth=1
	v_cvt_f32_u32_e32 v1, s28
	s_sub_i32 s30, 0, s28
	v_mov_b32_e32 v55, v4
	v_rcp_iflag_f32_e32 v1, v1
	s_nop 0
	v_mul_f32_e32 v1, 0x4f7ffffe, v1
	v_cvt_u32_f32_e32 v1, v1
	v_mul_lo_u32 v5, s30, v1
	v_mul_hi_u32 v5, v1, v5
	v_add_u32_e32 v1, v1, v5
	v_mul_hi_u32 v1, v6, v1
	v_mul_lo_u32 v5, v1, s28
	v_sub_u32_e32 v5, v6, v5
	v_add_u32_e32 v8, 1, v1
	v_subrev_u32_e32 v9, s28, v5
	v_cmp_le_u32_e32 vcc, s28, v5
	s_nop 1
	v_cndmask_b32_e32 v5, v5, v9, vcc
	v_cndmask_b32_e32 v1, v1, v8, vcc
	v_add_u32_e32 v8, 1, v1
	v_cmp_le_u32_e32 vcc, s28, v5
	s_nop 1
	v_cndmask_b32_e32 v54, v1, v8, vcc
.LBB0_6:                                ;   in Loop: Header=BB0_2 Depth=1
	s_or_b64 exec, exec, s[2:3]
	v_mad_u64_u32 v[8:9], s[2:3], v54, s28, 0
	s_load_dwordx2 s[2:3], s[22:23], 0x0
	v_mul_lo_u32 v1, v55, s28
	v_mul_lo_u32 v5, v54, s29
	s_load_dwordx2 s[28:29], s[20:21], 0x0
	s_add_u32 s26, s26, 1
	v_add3_u32 v1, v9, v5, v1
	v_sub_co_u32_e32 v5, vcc, v6, v8
	s_addc_u32 s27, s27, 0
	s_nop 0
	v_subb_co_u32_e32 v1, vcc, v7, v1, vcc
	s_add_u32 s20, s20, 8
	s_waitcnt lgkmcnt(0)
	v_mul_lo_u32 v6, s2, v1
	v_mul_lo_u32 v7, s3, v5
	v_mad_u64_u32 v[2:3], s[2:3], s2, v5, v[2:3]
	s_addc_u32 s21, s21, 0
	v_add3_u32 v3, v7, v3, v6
	v_mul_lo_u32 v1, s28, v1
	v_mul_lo_u32 v6, s29, v5
	v_mad_u64_u32 v[52:53], s[2:3], s28, v5, v[52:53]
	s_add_u32 s22, s22, 8
	v_add3_u32 v53, v6, v53, v1
	s_addc_u32 s23, s23, 0
	v_mov_b64_e32 v[6:7], s[6:7]
	s_add_u32 s24, s24, 8
	v_cmp_ge_u64_e32 vcc, s[26:27], v[6:7]
	s_addc_u32 s25, s25, 0
	s_cbranch_vccnz .LBB0_9
; %bb.7:                                ;   in Loop: Header=BB0_2 Depth=1
	v_mov_b64_e32 v[6:7], v[54:55]
	s_branch .LBB0_2
.LBB0_8:
	v_mov_b64_e32 v[52:53], v[2:3]
	v_mov_b64_e32 v[54:55], v[6:7]
.LBB0_9:
	s_load_dwordx2 s[0:1], s[0:1], 0x28
	s_lshl_b64 s[20:21], s[6:7], 3
	s_add_u32 s6, s14, s20
	s_addc_u32 s7, s15, s21
                                        ; implicit-def: $vgpr82
                                        ; implicit-def: $vgpr83
                                        ; implicit-def: $vgpr84
	s_waitcnt lgkmcnt(0)
	v_cmp_gt_u64_e32 vcc, s[0:1], v[54:55]
	v_cmp_le_u64_e64 s[0:1], s[0:1], v[54:55]
	s_and_saveexec_b64 s[2:3], s[0:1]
	s_xor_b64 s[0:1], exec, s[2:3]
; %bb.10:
	s_mov_b32 s2, 0x3291620
	v_mul_hi_u32 v1, v0, s2
	v_mul_u32_u24_e32 v1, 0x51, v1
	v_sub_u32_e32 v82, v0, v1
	v_add_u32_e32 v83, 0x51, v82
	v_add_u32_e32 v84, 0xa2, v82
                                        ; implicit-def: $vgpr0
                                        ; implicit-def: $vgpr2_vgpr3
; %bb.11:
	s_or_saveexec_b64 s[2:3], s[0:1]
	s_load_dwordx2 s[6:7], s[6:7], 0x0
                                        ; implicit-def: $vgpr42_vgpr43
                                        ; implicit-def: $vgpr30_vgpr31
                                        ; implicit-def: $vgpr26_vgpr27
                                        ; implicit-def: $vgpr50_vgpr51
                                        ; implicit-def: $vgpr46_vgpr47
                                        ; implicit-def: $vgpr22_vgpr23
                                        ; implicit-def: $vgpr38_vgpr39
                                        ; implicit-def: $vgpr34_vgpr35
                                        ; implicit-def: $vgpr8_vgpr9
                                        ; implicit-def: $vgpr16_vgpr17
                                        ; implicit-def: $vgpr12_vgpr13
                                        ; implicit-def: $vgpr4_vgpr5
	s_xor_b64 exec, exec, s[2:3]
	s_cbranch_execz .LBB0_15
; %bb.12:
	s_add_u32 s0, s12, s20
	s_addc_u32 s1, s13, s21
	s_load_dwordx2 s[0:1], s[0:1], 0x0
	s_mov_b32 s12, 0x3291620
                                        ; implicit-def: $vgpr28_vgpr29
                                        ; implicit-def: $vgpr40_vgpr41
	s_waitcnt lgkmcnt(0)
	v_mul_lo_u32 v1, s1, v54
	v_mul_lo_u32 v6, s0, v55
	v_mad_u64_u32 v[4:5], s[0:1], s0, v54, 0
	v_add3_u32 v5, v5, v6, v1
	v_mul_hi_u32 v1, v0, s12
	v_mul_u32_u24_e32 v1, 0x51, v1
	v_sub_u32_e32 v82, v0, v1
	v_mad_u64_u32 v[6:7], s[0:1], s18, v82, 0
	v_mov_b32_e32 v0, v7
	v_mad_u64_u32 v[0:1], s[0:1], s19, v82, v[0:1]
	v_mov_b32_e32 v7, v0
	v_lshl_add_u64 v[0:1], v[4:5], 4, s[8:9]
	v_add_u32_e32 v5, 0x10e, v82
	v_lshl_add_u64 v[0:1], v[2:3], 4, v[0:1]
	v_mad_u64_u32 v[2:3], s[0:1], s18, v5, 0
	v_mov_b32_e32 v4, v3
	v_mad_u64_u32 v[4:5], s[0:1], s19, v5, v[4:5]
	v_mov_b32_e32 v3, v4
	v_lshl_add_u64 v[6:7], v[6:7], 4, v[0:1]
	v_lshl_add_u64 v[8:9], v[2:3], 4, v[0:1]
	global_load_dwordx4 v[2:5], v[6:7], off
	global_load_dwordx4 v[10:13], v[8:9], off
	v_add_u32_e32 v9, 0x21c, v82
	v_mad_u64_u32 v[6:7], s[0:1], s18, v9, 0
	v_mov_b32_e32 v8, v7
	v_mad_u64_u32 v[8:9], s[0:1], s19, v9, v[8:9]
	v_mov_b32_e32 v7, v8
	v_add_u32_e32 v83, 0x51, v82
	v_lshl_add_u64 v[18:19], v[6:7], 4, v[0:1]
	v_mad_u64_u32 v[6:7], s[0:1], s18, v83, 0
	v_mov_b32_e32 v8, v7
	v_mad_u64_u32 v[8:9], s[0:1], s19, v83, v[8:9]
	v_mov_b32_e32 v7, v8
	v_lshl_add_u64 v[20:21], v[6:7], 4, v[0:1]
	global_load_dwordx4 v[14:17], v[18:19], off
	global_load_dwordx4 v[6:9], v[20:21], off
	v_add_u32_e32 v21, 0x15f, v82
	v_mad_u64_u32 v[18:19], s[0:1], s18, v21, 0
	v_mov_b32_e32 v20, v19
	v_mad_u64_u32 v[20:21], s[0:1], s19, v21, v[20:21]
	v_add_u32_e32 v23, 0x26d, v82
	v_mov_b32_e32 v19, v20
	v_mad_u64_u32 v[20:21], s[0:1], s18, v23, 0
	v_mov_b32_e32 v22, v21
	v_mad_u64_u32 v[22:23], s[0:1], s19, v23, v[22:23]
	v_lshl_add_u64 v[18:19], v[18:19], 4, v[0:1]
	v_mov_b32_e32 v21, v22
	v_add_u32_e32 v84, 0xa2, v82
	v_lshl_add_u64 v[20:21], v[20:21], 4, v[0:1]
	global_load_dwordx4 v[32:35], v[18:19], off
	global_load_dwordx4 v[36:39], v[20:21], off
	v_mad_u64_u32 v[18:19], s[0:1], s18, v84, 0
	v_mov_b32_e32 v20, v19
	v_mad_u64_u32 v[20:21], s[0:1], s19, v84, v[20:21]
	v_add_u32_e32 v23, 0x1b0, v82
	v_mov_b32_e32 v19, v20
	v_mad_u64_u32 v[20:21], s[0:1], s18, v23, 0
	v_mov_b32_e32 v22, v21
	v_mad_u64_u32 v[22:23], s[0:1], s19, v23, v[22:23]
	v_mov_b32_e32 v21, v22
	v_lshl_add_u64 v[18:19], v[18:19], 4, v[0:1]
	v_lshl_add_u64 v[24:25], v[20:21], 4, v[0:1]
	global_load_dwordx4 v[20:23], v[18:19], off
	global_load_dwordx4 v[44:47], v[24:25], off
	v_add_u32_e32 v25, 0x2be, v82
	v_mad_u64_u32 v[18:19], s[0:1], s18, v25, 0
	v_mov_b32_e32 v24, v19
	v_mad_u64_u32 v[24:25], s[0:1], s19, v25, v[24:25]
	v_mov_b32_e32 v19, v24
	v_lshl_add_u64 v[18:19], v[18:19], 4, v[0:1]
	global_load_dwordx4 v[48:51], v[18:19], off
	v_cmp_gt_u32_e64 s[0:1], 27, v82
                                        ; implicit-def: $vgpr24_vgpr25
	s_and_saveexec_b64 s[8:9], s[0:1]
	s_cbranch_execz .LBB0_14
; %bb.13:
	v_add_u32_e32 v25, 0xf3, v82
	v_mad_u64_u32 v[18:19], s[0:1], s18, v25, 0
	v_mov_b32_e32 v24, v19
	v_mad_u64_u32 v[24:25], s[0:1], s19, v25, v[24:25]
	v_add_u32_e32 v27, 0x201, v82
	v_mov_b32_e32 v19, v24
	v_mad_u64_u32 v[24:25], s[0:1], s18, v27, 0
	v_mov_b32_e32 v26, v25
	v_mad_u64_u32 v[26:27], s[0:1], s19, v27, v[26:27]
	v_mov_b32_e32 v25, v26
	v_lshl_add_u64 v[18:19], v[18:19], 4, v[0:1]
	v_lshl_add_u64 v[40:41], v[24:25], 4, v[0:1]
	global_load_dwordx4 v[24:27], v[18:19], off
	global_load_dwordx4 v[28:31], v[40:41], off
	v_add_u32_e32 v41, 0x30f, v82
	v_mad_u64_u32 v[18:19], s[0:1], s18, v41, 0
	v_mov_b32_e32 v40, v19
	v_mad_u64_u32 v[40:41], s[0:1], s19, v41, v[40:41]
	v_mov_b32_e32 v19, v40
	v_lshl_add_u64 v[0:1], v[18:19], 4, v[0:1]
	global_load_dwordx4 v[40:43], v[0:1], off
.LBB0_14:
	s_or_b64 exec, exec, s[8:9]
.LBB0_15:
	s_or_b64 exec, exec, s[2:3]
	s_waitcnt vmcnt(6)
	v_add_f64 v[18:19], v[14:15], v[10:11]
	s_mov_b32 s2, 0xe8584caa
	v_add_f64 v[0:1], v[10:11], v[2:3]
	v_fmac_f64_e32 v[2:3], -0.5, v[18:19]
	v_add_f64 v[18:19], v[12:13], -v[16:17]
	s_mov_b32 s3, 0x3febb67a
	v_fma_f64 v[56:57], s[2:3], v[18:19], v[2:3]
	s_mov_b32 s9, 0xbfebb67a
	s_mov_b32 s8, s2
	s_waitcnt vmcnt(3)
	v_add_f64 v[58:59], v[36:37], v[32:33]
	v_add_f64 v[0:1], v[14:15], v[0:1]
	v_mad_u32_u24 v69, v82, 24, 0
	v_fmac_f64_e32 v[2:3], s[8:9], v[18:19]
	v_add_f64 v[18:19], v[32:33], v[6:7]
	v_fmac_f64_e32 v[6:7], -0.5, v[58:59]
	v_add_f64 v[58:59], v[34:35], -v[38:39]
	ds_write2_b64 v69, v[0:1], v[56:57] offset1:1
	s_waitcnt vmcnt(0)
	v_add_f64 v[56:57], v[48:49], v[44:45]
	v_fma_f64 v[60:61], s[2:3], v[58:59], v[6:7]
	v_add_f64 v[18:19], v[36:37], v[18:19]
	v_add_f64 v[0:1], v[44:45], v[20:21]
	v_fmac_f64_e32 v[20:21], -0.5, v[56:57]
	ds_write_b64 v69, v[2:3] offset:16
	v_mad_i32_i24 v66, v83, 24, 0
	v_add_f64 v[2:3], v[46:47], -v[50:51]
	v_fmac_f64_e32 v[6:7], s[8:9], v[58:59]
	v_add_f64 v[0:1], v[48:49], v[0:1]
	ds_write2_b64 v66, v[18:19], v[60:61] offset1:1
	v_fma_f64 v[18:19], s[2:3], v[2:3], v[20:21]
	v_fmac_f64_e32 v[20:21], s[8:9], v[2:3]
	v_add_f64 v[2:3], v[40:41], v[28:29]
	v_mad_i32_i24 v67, v84, 24, 0
	v_fma_f64 v[56:57], -0.5, v[2:3], v[24:25]
	ds_write_b64 v66, v[6:7] offset:16
	ds_write2_b64 v67, v[0:1], v[18:19] offset1:1
	v_add_f64 v[0:1], v[30:31], -v[42:43]
	v_fma_f64 v[58:59], s[2:3], v[0:1], v[56:57]
	v_fmac_f64_e32 v[56:57], s[8:9], v[0:1]
	v_cmp_gt_u32_e64 s[0:1], 27, v82
	ds_write_b64 v67, v[20:21] offset:16
	s_and_saveexec_b64 s[12:13], s[0:1]
	s_cbranch_execz .LBB0_17
; %bb.16:
	v_add_f64 v[0:1], v[28:29], v[24:25]
	v_add_u32_e32 v2, 0x16c8, v69
	v_add_f64 v[0:1], v[40:41], v[0:1]
	ds_write2_b64 v2, v[0:1], v[58:59] offset1:1
	ds_write_b64 v69, v[56:57] offset:5848
.LBB0_17:
	s_or_b64 exec, exec, s[12:13]
	v_add_f64 v[0:1], v[12:13], v[4:5]
	v_add_f64 v[6:7], v[16:17], v[0:1]
	v_add_f64 v[0:1], v[16:17], v[12:13]
	v_fmac_f64_e32 v[4:5], -0.5, v[0:1]
	v_add_f64 v[0:1], v[10:11], -v[14:15]
	v_fma_f64 v[24:25], s[8:9], v[0:1], v[4:5]
	v_fmac_f64_e32 v[4:5], s[2:3], v[0:1]
	v_add_f64 v[0:1], v[34:35], v[8:9]
	v_add_f64 v[70:71], v[38:39], v[0:1]
	v_add_f64 v[0:1], v[38:39], v[34:35]
	v_fmac_f64_e32 v[8:9], -0.5, v[0:1]
	v_add_f64 v[0:1], v[32:33], -v[36:37]
	v_fma_f64 v[32:33], s[8:9], v[0:1], v[8:9]
	v_fmac_f64_e32 v[8:9], s[2:3], v[0:1]
	;; [unrolled: 7-line block ×3, first 2 shown]
	v_lshlrev_b32_e32 v0, 4, v82
	v_sub_u32_e32 v85, v69, v0
	v_lshlrev_b32_e32 v38, 4, v83
	v_lshlrev_b32_e32 v39, 4, v84
	v_sub_u32_e32 v10, v66, v38
	v_sub_u32_e32 v11, v67, v39
	v_add_u32_e32 v77, 0x800, v85
	v_add_u32_e32 v78, 0xc00, v85
	v_add_u32_e32 v76, 0x1000, v85
	s_waitcnt lgkmcnt(0)
	s_barrier
	ds_read2_b64 v[0:3], v85 offset1:243
	ds_read_b64 v[64:65], v10
	ds_read_b64 v[62:63], v11
	ds_read2_b64 v[18:21], v77 offset0:68 offset1:149
	ds_read2_b64 v[14:17], v78 offset0:102 offset1:183
	;; [unrolled: 1-line block ×3, first 2 shown]
	s_waitcnt lgkmcnt(0)
	s_barrier
	ds_write2_b64 v69, v[6:7], v[24:25] offset1:1
	v_add_f64 v[6:7], v[42:43], v[30:31]
	v_fma_f64 v[50:51], -0.5, v[6:7], v[26:27]
	v_add_f64 v[6:7], v[28:29], -v[40:41]
	v_fma_f64 v[60:61], s[8:9], v[6:7], v[50:51]
	v_fmac_f64_e32 v[50:51], s[2:3], v[6:7]
	v_sub_u32_e32 v6, 0, v38
	v_sub_u32_e32 v68, 0, v39
	ds_write_b64 v69, v[4:5] offset:16
	ds_write2_b64 v66, v[70:71], v[32:33] offset1:1
	ds_write_b64 v66, v[8:9] offset:16
	ds_write2_b64 v67, v[34:35], v[36:37] offset1:1
	ds_write_b64 v67, v[22:23] offset:16
	s_and_saveexec_b64 s[2:3], s[0:1]
	s_cbranch_execz .LBB0_19
; %bb.18:
	v_add_f64 v[4:5], v[30:31], v[26:27]
	v_add_f64 v[4:5], v[42:43], v[4:5]
	v_add_u32_e32 v7, 0x16c8, v69
	ds_write2_b64 v7, v[4:5], v[60:61] offset1:1
	ds_write_b64 v69, v[50:51] offset:5848
.LBB0_19:
	s_or_b64 exec, exec, s[2:3]
	s_movk_i32 s2, 0xab
	v_mul_lo_u16_sdwa v4, v82, s2 dst_sel:DWORD dst_unused:UNUSED_PAD src0_sel:BYTE_0 src1_sel:DWORD
	v_lshrrev_b16_e32 v79, 9, v4
	v_mul_lo_u16_e32 v4, 3, v79
	v_sub_u16_e32 v118, v82, v4
	v_mov_b32_e32 v4, 9
	v_mul_u32_u24_sdwa v4, v118, v4 dst_sel:DWORD dst_unused:UNUSED_PAD src0_sel:BYTE_0 src1_sel:DWORD
	v_lshlrev_b32_e32 v4, 4, v4
	s_waitcnt lgkmcnt(0)
	s_barrier
	global_load_dwordx4 v[22:25], v4, s[4:5] offset:48
	global_load_dwordx4 v[46:49], v4, s[4:5] offset:64
	;; [unrolled: 1-line block ×4, first 2 shown]
	global_load_dwordx4 v[42:45], v4, s[4:5]
	global_load_dwordx4 v[34:37], v4, s[4:5] offset:16
	global_load_dwordx4 v[26:29], v4, s[4:5] offset:32
	global_load_dwordx4 v[72:75], v4, s[4:5] offset:112
	global_load_dwordx4 v[88:91], v4, s[4:5] offset:128
	v_add_u32_e32 v86, v66, v6
	ds_read2_b64 v[92:95], v77 offset0:68 offset1:149
	ds_read2_b64 v[96:99], v78 offset0:102 offset1:183
	ds_read2_b64 v[4:7], v85 offset1:243
	v_add_u32_e32 v87, v67, v68
	ds_read2_b64 v[100:103], v76 offset0:136 offset1:217
	ds_read_b64 v[8:9], v86
	ds_read_b64 v[80:81], v87
	s_mov_b32 s14, 0x134454ff
	s_mov_b32 s15, 0x3fee6f0e
	;; [unrolled: 1-line block ×12, first 2 shown]
	s_waitcnt lgkmcnt(0)
	s_barrier
	s_waitcnt vmcnt(8)
	v_mul_f64 v[104:105], v[92:93], v[24:25]
	v_mul_f64 v[66:67], v[18:19], v[24:25]
	s_waitcnt vmcnt(7)
	v_mul_f64 v[106:107], v[94:95], v[48:49]
	v_mul_f64 v[24:25], v[20:21], v[48:49]
	;; [unrolled: 3-line block ×3, first 2 shown]
	s_waitcnt vmcnt(5)
	v_mul_f64 v[110:111], v[98:99], v[32:33]
	s_waitcnt vmcnt(4)
	v_mul_f64 v[112:113], v[8:9], v[44:45]
	v_mul_f64 v[40:41], v[64:65], v[44:45]
	s_waitcnt vmcnt(3)
	v_mul_f64 v[114:115], v[80:81], v[36:37]
	;; [unrolled: 3-line block ×5, first 2 shown]
	v_mul_f64 v[32:33], v[16:17], v[32:33]
	v_mul_f64 v[44:45], v[12:13], v[90:91]
	v_fma_f64 v[18:19], v[18:19], v[22:23], -v[104:105]
	v_fmac_f64_e32 v[66:67], v[92:93], v[22:23]
	v_fma_f64 v[90:91], v[20:21], v[46:47], -v[106:107]
	v_fma_f64 v[20:21], v[14:15], v[38:39], -v[108:109]
	v_fma_f64 v[92:93], v[16:17], v[30:31], -v[110:111]
	v_fma_f64 v[14:15], v[64:65], v[42:43], -v[112:113]
	v_fmac_f64_e32 v[40:41], v[8:9], v[42:43]
	v_fma_f64 v[42:43], v[62:63], v[34:35], -v[114:115]
	v_fma_f64 v[2:3], v[2:3], v[26:27], -v[36:37]
	v_fmac_f64_e32 v[28:29], v[6:7], v[26:27]
	v_fma_f64 v[62:63], v[10:11], v[72:73], -v[116:117]
	v_fma_f64 v[6:7], v[12:13], v[88:89], -v[74:75]
	v_fmac_f64_e32 v[24:25], v[94:95], v[46:47]
	v_fmac_f64_e32 v[48:49], v[96:97], v[38:39]
	;; [unrolled: 1-line block ×5, first 2 shown]
	v_add_f64 v[10:11], v[18:19], v[20:21]
	v_add_f64 v[12:13], v[42:43], v[62:63]
	v_add_f64 v[16:17], v[18:19], -v[42:43]
	v_add_f64 v[22:23], v[20:21], -v[62:63]
	v_add_f64 v[30:31], v[90:91], v[92:93]
	v_add_f64 v[34:35], v[2:3], v[6:7]
	v_add_f64 v[36:37], v[90:91], -v[2:3]
	v_add_f64 v[38:39], v[92:93], -v[6:7]
	v_add_f64 v[8:9], v[0:1], v[42:43]
	v_add_f64 v[26:27], v[14:15], v[2:3]
	v_fma_f64 v[10:11], -0.5, v[10:11], v[0:1]
	v_fmac_f64_e32 v[0:1], -0.5, v[12:13]
	v_add_f64 v[12:13], v[16:17], v[22:23]
	v_fma_f64 v[16:17], -0.5, v[30:31], v[14:15]
	v_fmac_f64_e32 v[14:15], -0.5, v[34:35]
	v_add_f64 v[30:31], v[36:37], v[38:39]
	v_add_f64 v[94:95], v[24:25], -v[32:33]
	v_add_f64 v[38:39], v[28:29], v[44:45]
	v_add_f64 v[46:47], v[24:25], -v[28:29]
	v_add_f64 v[64:65], v[32:33], -v[44:45]
	v_fma_f64 v[22:23], s[8:9], v[94:95], v[14:15]
	v_fmac_f64_e32 v[14:15], s[14:15], v[94:95]
	v_add_f64 v[96:97], v[28:29], -v[44:45]
	v_fma_f64 v[38:39], -0.5, v[38:39], v[40:41]
	v_add_f64 v[98:99], v[90:91], -v[92:93]
	v_fmac_f64_e32 v[70:71], v[100:101], v[72:73]
	v_add_f64 v[34:35], v[46:47], v[64:65]
	v_add_f64 v[36:37], v[66:67], -v[48:49]
	v_fmac_f64_e32 v[14:15], s[18:19], v[96:97]
	v_fma_f64 v[46:47], s[14:15], v[98:99], v[38:39]
	v_fmac_f64_e32 v[38:39], s[8:9], v[98:99]
	v_add_f64 v[100:101], v[2:3], -v[6:7]
	v_fma_f64 v[80:81], s[8:9], v[36:37], v[0:1]
	v_fmac_f64_e32 v[0:1], s[14:15], v[36:37]
	v_add_f64 v[88:89], v[68:69], -v[70:71]
	v_fmac_f64_e32 v[14:15], s[2:3], v[30:31]
	v_fmac_f64_e32 v[38:39], s[12:13], v[100:101]
	;; [unrolled: 1-line block ×4, first 2 shown]
	v_mul_f64 v[64:65], v[14:15], s[2:3]
	v_add_f64 v[26:27], v[26:27], v[90:91]
	v_fmac_f64_e32 v[0:1], s[2:3], v[12:13]
	v_fma_f64 v[64:65], v[38:39], s[14:15], -v[64:65]
	v_add_f64 v[26:27], v[26:27], v[92:93]
	v_add_f64 v[102:103], v[0:1], v[64:65]
	v_add_f64 v[0:1], v[0:1], -v[64:65]
	v_add_f64 v[64:65], v[42:43], -v[18:19]
	;; [unrolled: 1-line block ×4, first 2 shown]
	v_add_f64 v[26:27], v[26:27], v[6:7]
	v_add_f64 v[6:7], v[6:7], -v[92:93]
	v_add_f64 v[104:105], v[64:65], v[72:73]
	v_add_f64 v[2:3], v[2:3], v[6:7]
	v_add_f64 v[6:7], v[28:29], -v[24:25]
	v_add_f64 v[64:65], v[44:45], -v[32:33]
	v_add_f64 v[6:7], v[6:7], v[64:65]
	v_mov_b32_e32 v64, 3
	v_lshlrev_b32_sdwa v64, v64, v118 dst_sel:DWORD dst_unused:UNUSED_PAD src0_sel:DWORD src1_sel:BYTE_0
	v_mul_u32_u24_e32 v65, 0xf0, v79
	v_add3_u32 v79, 0, v65, v64
	v_add_f64 v[64:65], v[24:25], v[32:33]
	v_fma_f64 v[64:65], -0.5, v[64:65], v[40:41]
	v_add_f64 v[8:9], v[8:9], v[18:19]
	v_fma_f64 v[72:73], s[14:15], v[96:97], v[16:17]
	v_fma_f64 v[74:75], s[8:9], v[100:101], v[64:65]
	v_fmac_f64_e32 v[46:47], s[18:19], v[100:101]
	v_fmac_f64_e32 v[16:17], s[8:9], v[96:97]
	v_add_f64 v[8:9], v[8:9], v[20:21]
	v_fmac_f64_e32 v[74:75], s[18:19], v[98:99]
	v_fmac_f64_e32 v[80:81], s[12:13], v[88:89]
	;; [unrolled: 1-line block ×6, first 2 shown]
	v_add_f64 v[8:9], v[8:9], v[62:63]
	v_fma_f64 v[90:91], s[14:15], v[88:89], v[10:11]
	v_fmac_f64_e32 v[72:73], s[12:13], v[94:95]
	v_fmac_f64_e32 v[74:75], s[2:3], v[6:7]
	;; [unrolled: 1-line block ×4, first 2 shown]
	v_mul_f64 v[12:13], v[46:47], s[14:15]
	v_fmac_f64_e32 v[10:11], s[8:9], v[88:89]
	v_fmac_f64_e32 v[16:17], s[2:3], v[2:3]
	;; [unrolled: 1-line block ×5, first 2 shown]
	v_mul_f64 v[92:93], v[74:75], s[12:13]
	v_add_f64 v[106:107], v[8:9], v[26:27]
	v_fmac_f64_e32 v[12:13], s[2:3], v[22:23]
	v_fmac_f64_e32 v[10:11], s[18:19], v[36:37]
	;; [unrolled: 1-line block ×3, first 2 shown]
	v_add_f64 v[2:3], v[8:9], -v[26:27]
	v_mul_f64 v[8:9], v[16:17], s[20:21]
	v_fmac_f64_e32 v[90:91], s[2:3], v[104:105]
	v_fmac_f64_e32 v[92:93], s[20:21], v[72:73]
	v_add_f64 v[30:31], v[80:81], v[12:13]
	v_fmac_f64_e32 v[10:11], s[2:3], v[104:105]
	v_fma_f64 v[8:9], v[64:65], s[12:13], -v[8:9]
	v_add_f64 v[108:109], v[90:91], v[92:93]
	ds_write2_b64 v79, v[30:31], v[102:103] offset0:6 offset1:9
	v_add_f64 v[6:7], v[90:91], -v[92:93]
	v_add_f64 v[12:13], v[80:81], -v[12:13]
	v_add_f64 v[30:31], v[10:11], v[8:9]
	ds_write2_b64 v79, v[106:107], v[108:109] offset1:3
	v_add_f64 v[26:27], v[10:11], -v[8:9]
	ds_write2_b64 v79, v[30:31], v[2:3] offset0:12 offset1:15
	ds_write2_b64 v79, v[6:7], v[12:13] offset0:18 offset1:21
	;; [unrolled: 1-line block ×3, first 2 shown]
	s_waitcnt lgkmcnt(0)
	s_barrier
	ds_read2_b64 v[6:9], v77 offset0:14 offset1:95
	ds_read2_b64 v[0:3], v78 offset0:48 offset1:156
	ds_read_b64 v[36:37], v85
	ds_read_b64 v[34:35], v86
	;; [unrolled: 1-line block ×3, first 2 shown]
	ds_read2_b64 v[10:13], v76 offset0:109 offset1:190
	s_and_saveexec_b64 s[22:23], s[0:1]
	s_cbranch_execz .LBB0_21
; %bb.20:
	ds_read_b64 v[26:27], v85 offset:1944
	ds_read_b64 v[58:59], v85 offset:4104
	ds_read_b64 v[56:57], v85 offset:6264
.LBB0_21:
	s_or_b64 exec, exec, s[22:23]
	v_add_f64 v[80:81], v[66:67], v[48:49]
	v_fma_f64 v[80:81], -0.5, v[80:81], v[4:5]
	v_add_f64 v[42:43], v[42:43], -v[62:63]
	v_fma_f64 v[62:63], s[8:9], v[42:43], v[80:81]
	v_add_f64 v[18:19], v[18:19], -v[20:21]
	v_add_f64 v[20:21], v[68:69], -v[66:67]
	;; [unrolled: 1-line block ×3, first 2 shown]
	v_fmac_f64_e32 v[80:81], s[14:15], v[42:43]
	v_fmac_f64_e32 v[62:63], s[18:19], v[18:19]
	v_add_f64 v[20:21], v[20:21], v[88:89]
	v_fmac_f64_e32 v[80:81], s[12:13], v[18:19]
	v_fmac_f64_e32 v[62:63], s[2:3], v[20:21]
	;; [unrolled: 1-line block ×3, first 2 shown]
	v_add_f64 v[20:21], v[68:69], v[70:71]
	v_add_f64 v[76:77], v[4:5], v[68:69]
	v_fmac_f64_e32 v[4:5], -0.5, v[20:21]
	v_add_f64 v[76:77], v[76:77], v[66:67]
	v_fma_f64 v[20:21], s[14:15], v[18:19], v[4:5]
	v_fmac_f64_e32 v[4:5], s[8:9], v[18:19]
	v_add_f64 v[18:19], v[40:41], v[28:29]
	v_add_f64 v[76:77], v[76:77], v[48:49]
	v_add_f64 v[66:67], v[66:67], -v[68:69]
	v_add_f64 v[48:49], v[48:49], -v[70:71]
	v_add_f64 v[18:19], v[18:19], v[24:25]
	v_add_f64 v[48:49], v[66:67], v[48:49]
	v_fmac_f64_e32 v[4:5], s[12:13], v[42:43]
	v_add_f64 v[18:19], v[18:19], v[32:33]
	v_mul_f64 v[28:29], v[72:73], s[18:19]
	v_mul_f64 v[32:33], v[38:39], s[2:3]
	v_add_f64 v[76:77], v[76:77], v[70:71]
	v_fmac_f64_e32 v[20:21], s[18:19], v[42:43]
	v_fmac_f64_e32 v[4:5], s[2:3], v[48:49]
	v_add_f64 v[18:19], v[18:19], v[44:45]
	v_fmac_f64_e32 v[28:29], s[20:21], v[74:75]
	v_mul_f64 v[22:23], v[22:23], s[8:9]
	v_fma_f64 v[14:15], v[14:15], s[8:9], -v[32:33]
	v_mul_f64 v[32:33], v[64:65], s[20:21]
	v_fmac_f64_e32 v[20:21], s[2:3], v[48:49]
	v_add_f64 v[24:25], v[76:77], v[18:19]
	v_add_f64 v[40:41], v[62:63], v[28:29]
	v_fmac_f64_e32 v[22:23], s[2:3], v[46:47]
	v_add_f64 v[38:39], v[4:5], v[14:15]
	v_fma_f64 v[16:17], v[16:17], s[18:19], -v[32:33]
	v_add_f64 v[4:5], v[4:5], -v[14:15]
	v_add_f64 v[42:43], v[20:21], v[22:23]
	v_add_f64 v[44:45], v[80:81], v[16:17]
	v_add_f64 v[18:19], v[76:77], -v[18:19]
	v_add_f64 v[28:29], v[62:63], -v[28:29]
	;; [unrolled: 1-line block ×4, first 2 shown]
	s_waitcnt lgkmcnt(0)
	s_barrier
	ds_write2_b64 v79, v[24:25], v[40:41] offset1:3
	ds_write2_b64 v79, v[42:43], v[38:39] offset0:6 offset1:9
	ds_write2_b64 v79, v[44:45], v[18:19] offset0:12 offset1:15
	;; [unrolled: 1-line block ×4, first 2 shown]
	v_add_u32_e32 v4, 0x800, v85
	s_waitcnt lgkmcnt(0)
	s_barrier
	ds_read2_b64 v[22:25], v4 offset0:14 offset1:95
	v_add_u32_e32 v4, 0xc00, v85
	ds_read2_b64 v[14:17], v4 offset0:48 offset1:156
	v_add_u32_e32 v4, 0x1000, v85
	ds_read2_b64 v[18:21], v4 offset0:109 offset1:190
	ds_read_b64 v[46:47], v85
	ds_read_b64 v[42:43], v86
	;; [unrolled: 1-line block ×3, first 2 shown]
	s_and_saveexec_b64 s[2:3], s[0:1]
	s_cbranch_execz .LBB0_23
; %bb.22:
	ds_read_b64 v[32:33], v85 offset:1944
	ds_read_b64 v[60:61], v85 offset:4104
	;; [unrolled: 1-line block ×3, first 2 shown]
.LBB0_23:
	s_or_b64 exec, exec, s[2:3]
	s_movk_i32 s2, 0x89
	v_mul_lo_u16_sdwa v4, v82, s2 dst_sel:DWORD dst_unused:UNUSED_PAD src0_sel:BYTE_0 src1_sel:DWORD
	v_lshrrev_b16_e32 v89, 12, v4
	v_mul_lo_u16_e32 v4, 30, v89
	v_sub_u16_e32 v122, v82, v4
	v_mov_b32_e32 v4, 5
	v_lshlrev_b32_sdwa v5, v4, v122 dst_sel:DWORD dst_unused:UNUSED_PAD src0_sel:DWORD src1_sel:BYTE_0
	global_load_dwordx4 v[90:93], v5, s[4:5] offset:448
	global_load_dwordx4 v[94:97], v5, s[4:5] offset:432
	v_mul_lo_u16_sdwa v5, v83, s2 dst_sel:DWORD dst_unused:UNUSED_PAD src0_sel:BYTE_0 src1_sel:DWORD
	v_lshrrev_b16_e32 v123, 12, v5
	v_mul_lo_u16_e32 v5, 30, v123
	v_sub_u16_e32 v124, v83, v5
	v_lshlrev_b32_sdwa v5, v4, v124 dst_sel:DWORD dst_unused:UNUSED_PAD src0_sel:DWORD src1_sel:BYTE_0
	global_load_dwordx4 v[98:101], v5, s[4:5] offset:448
	global_load_dwordx4 v[102:105], v5, s[4:5] offset:432
	v_mul_lo_u16_sdwa v5, v84, s2 dst_sel:DWORD dst_unused:UNUSED_PAD src0_sel:BYTE_0 src1_sel:DWORD
	v_lshrrev_b16_e32 v125, 12, v5
	v_mul_lo_u16_e32 v5, 30, v125
	v_sub_u16_e32 v126, v84, v5
	v_add_u32_e32 v88, 0xf3, v82
	v_lshlrev_b32_sdwa v4, v4, v126 dst_sel:DWORD dst_unused:UNUSED_PAD src0_sel:DWORD src1_sel:BYTE_0
	s_mov_b32 s2, 0x8889
	global_load_dwordx4 v[106:109], v4, s[4:5] offset:448
	global_load_dwordx4 v[110:113], v4, s[4:5] offset:432
	v_mul_u32_u24_sdwa v4, v88, s2 dst_sel:DWORD dst_unused:UNUSED_PAD src0_sel:WORD_0 src1_sel:DWORD
	v_lshrrev_b32_e32 v4, 20, v4
	v_mul_lo_u16_e32 v4, 30, v4
	v_sub_u16_e32 v127, v88, v4
	v_lshlrev_b32_e32 v4, 5, v127
	global_load_dwordx4 v[114:117], v4, s[4:5] offset:432
	global_load_dwordx4 v[118:121], v4, s[4:5] offset:448
	s_mov_b32 s2, 0xe8584caa
	s_mov_b32 s3, 0x3febb67a
	;; [unrolled: 1-line block ×4, first 2 shown]
	s_waitcnt lgkmcnt(0)
	s_barrier
	s_waitcnt vmcnt(7)
	v_mul_f64 v[28:29], v[16:17], v[92:93]
	s_waitcnt vmcnt(6)
	v_mul_f64 v[4:5], v[22:23], v[96:97]
	v_mul_f64 v[74:75], v[6:7], v[96:97]
	;; [unrolled: 1-line block ×3, first 2 shown]
	v_fma_f64 v[78:79], v[6:7], v[94:95], -v[4:5]
	v_fmac_f64_e32 v[74:75], v[22:23], v[94:95]
	s_waitcnt vmcnt(5)
	v_mul_f64 v[44:45], v[18:19], v[100:101]
	s_waitcnt vmcnt(4)
	v_mul_f64 v[40:41], v[24:25], v[104:105]
	v_mul_f64 v[70:71], v[8:9], v[104:105]
	v_mul_f64 v[72:73], v[10:11], v[100:101]
	v_fma_f64 v[80:81], v[2:3], v[90:91], -v[28:29]
	v_fmac_f64_e32 v[76:77], v[16:17], v[90:91]
	v_fma_f64 v[22:23], v[8:9], v[102:103], -v[40:41]
	v_fmac_f64_e32 v[70:71], v[24:25], v[102:103]
	s_waitcnt vmcnt(3)
	v_mul_f64 v[92:93], v[20:21], v[108:109]
	s_waitcnt vmcnt(2)
	v_mul_f64 v[48:49], v[14:15], v[112:113]
	v_mul_f64 v[66:67], v[0:1], v[112:113]
	;; [unrolled: 1-line block ×3, first 2 shown]
	v_fma_f64 v[16:17], v[0:1], v[110:111], -v[48:49]
	v_fma_f64 v[24:25], v[10:11], v[98:99], -v[44:45]
	s_waitcnt vmcnt(1)
	v_mul_f64 v[96:97], v[60:61], v[116:117]
	s_waitcnt vmcnt(0)
	v_mul_f64 v[100:101], v[50:51], v[120:121]
	v_mul_f64 v[62:63], v[58:59], v[116:117]
	;; [unrolled: 1-line block ×3, first 2 shown]
	v_fmac_f64_e32 v[72:73], v[18:19], v[98:99]
	v_fmac_f64_e32 v[66:67], v[14:15], v[110:111]
	v_fma_f64 v[18:19], v[12:13], v[106:107], -v[92:93]
	v_fmac_f64_e32 v[68:69], v[20:21], v[106:107]
	v_fma_f64 v[12:13], v[58:59], v[114:115], -v[96:97]
	v_fma_f64 v[14:15], v[56:57], v[118:119], -v[100:101]
	v_add_f64 v[2:3], v[78:79], v[80:81]
	v_add_f64 v[6:7], v[34:35], v[22:23]
	;; [unrolled: 1-line block ×3, first 2 shown]
	v_fmac_f64_e32 v[62:63], v[60:61], v[114:115]
	v_fmac_f64_e32 v[64:65], v[50:51], v[118:119]
	v_add_f64 v[0:1], v[36:37], v[78:79]
	v_fmac_f64_e32 v[36:37], -0.5, v[2:3]
	v_add_f64 v[2:3], v[6:7], v[24:25]
	v_add_f64 v[6:7], v[20:21], v[18:19]
	;; [unrolled: 1-line block ×6, first 2 shown]
	v_fmac_f64_e32 v[26:27], -0.5, v[20:21]
	v_add_f64 v[20:21], v[62:63], -v[64:65]
	v_add_f64 v[4:5], v[74:75], -v[76:77]
	;; [unrolled: 1-line block ×4, first 2 shown]
	v_fmac_f64_e32 v[34:35], -0.5, v[8:9]
	v_fmac_f64_e32 v[30:31], -0.5, v[28:29]
	v_add_f64 v[28:29], v[44:45], v[14:15]
	v_fma_f64 v[44:45], s[2:3], v[20:21], v[26:27]
	v_fmac_f64_e32 v[26:27], s[8:9], v[20:21]
	v_mov_b32_e32 v21, 3
	v_fma_f64 v[8:9], s[2:3], v[4:5], v[36:37]
	v_fmac_f64_e32 v[36:37], s[8:9], v[4:5]
	v_fma_f64 v[4:5], s[2:3], v[10:11], v[34:35]
	v_fmac_f64_e32 v[34:35], s[8:9], v[10:11]
	;; [unrolled: 2-line block ×3, first 2 shown]
	v_mul_u32_u24_e32 v20, 0x2d0, v89
	v_lshlrev_b32_sdwa v40, v21, v122 dst_sel:DWORD dst_unused:UNUSED_PAD src0_sel:DWORD src1_sel:BYTE_0
	v_add_f64 v[0:1], v[0:1], v[80:81]
	v_add3_u32 v20, 0, v20, v40
	ds_write2_b64 v20, v[0:1], v[8:9] offset1:30
	ds_write_b64 v20, v[36:37] offset:480
	v_mul_u32_u24_e32 v0, 0x2d0, v123
	v_lshlrev_b32_sdwa v1, v21, v124 dst_sel:DWORD dst_unused:UNUSED_PAD src0_sel:DWORD src1_sel:BYTE_0
	v_add3_u32 v36, 0, v0, v1
	v_mul_u32_u24_e32 v0, 0x2d0, v125
	v_lshlrev_b32_sdwa v1, v21, v126 dst_sel:DWORD dst_unused:UNUSED_PAD src0_sel:DWORD src1_sel:BYTE_0
	v_add3_u32 v37, 0, v0, v1
	v_lshl_add_u32 v21, v127, 3, 0
	ds_write2_b64 v36, v[2:3], v[4:5] offset1:30
	ds_write_b64 v36, v[34:35] offset:480
	ds_write2_b64 v37, v[6:7], v[10:11] offset1:30
	ds_write_b64 v37, v[30:31] offset:480
	s_and_saveexec_b64 s[2:3], s[0:1]
	s_cbranch_execz .LBB0_25
; %bb.24:
	v_add_u32_e32 v0, 0x1000, v21
	ds_write2_b64 v0, v[28:29], v[44:45] offset0:208 offset1:238
	ds_write_b64 v21, v[26:27] offset:6240
.LBB0_25:
	s_or_b64 exec, exec, s[2:3]
	v_add_u32_e32 v0, 0x800, v85
	s_waitcnt lgkmcnt(0)
	s_barrier
	ds_read2_b64 v[8:11], v0 offset0:14 offset1:95
	v_add_u32_e32 v0, 0xc00, v85
	v_add_u32_e32 v4, 0x1000, v85
	ds_read2_b64 v[0:3], v0 offset0:48 offset1:156
	ds_read2_b64 v[4:7], v4 offset0:109 offset1:190
	ds_read_b64 v[48:49], v85
	ds_read_b64 v[40:41], v86
	ds_read_b64 v[34:35], v87
	s_and_saveexec_b64 s[2:3], s[0:1]
	s_cbranch_execz .LBB0_27
; %bb.26:
	ds_read_b64 v[28:29], v85 offset:1944
	ds_read_b64 v[44:45], v85 offset:4104
	;; [unrolled: 1-line block ×3, first 2 shown]
.LBB0_27:
	s_or_b64 exec, exec, s[2:3]
	v_add_f64 v[30:31], v[46:47], v[74:75]
	v_add_f64 v[56:57], v[30:31], v[76:77]
	;; [unrolled: 1-line block ×3, first 2 shown]
	s_mov_b32 s2, 0xe8584caa
	v_fmac_f64_e32 v[46:47], -0.5, v[30:31]
	v_add_f64 v[30:31], v[78:79], -v[80:81]
	s_mov_b32 s3, 0xbfebb67a
	s_mov_b32 s9, 0x3febb67a
	;; [unrolled: 1-line block ×3, first 2 shown]
	v_fma_f64 v[58:59], s[2:3], v[30:31], v[46:47]
	v_fmac_f64_e32 v[46:47], s[8:9], v[30:31]
	v_add_f64 v[30:31], v[42:43], v[70:71]
	v_add_f64 v[60:61], v[30:31], v[72:73]
	;; [unrolled: 1-line block ×3, first 2 shown]
	v_fmac_f64_e32 v[42:43], -0.5, v[30:31]
	v_add_f64 v[22:23], v[22:23], -v[24:25]
	v_add_f64 v[30:31], v[66:67], v[68:69]
	v_fma_f64 v[24:25], s[2:3], v[22:23], v[42:43]
	v_fmac_f64_e32 v[42:43], s[8:9], v[22:23]
	v_add_f64 v[22:23], v[38:39], v[66:67]
	v_fmac_f64_e32 v[38:39], -0.5, v[30:31]
	v_add_f64 v[16:17], v[16:17], -v[18:19]
	v_fma_f64 v[18:19], s[2:3], v[16:17], v[38:39]
	v_fmac_f64_e32 v[38:39], s[8:9], v[16:17]
	v_add_f64 v[16:17], v[32:33], v[62:63]
	v_add_f64 v[30:31], v[16:17], v[64:65]
	;; [unrolled: 1-line block ×3, first 2 shown]
	v_fmac_f64_e32 v[32:33], -0.5, v[16:17]
	v_add_f64 v[12:13], v[12:13], -v[14:15]
	v_fma_f64 v[50:51], s[2:3], v[12:13], v[32:33]
	v_fmac_f64_e32 v[32:33], s[8:9], v[12:13]
	v_add_f64 v[22:23], v[22:23], v[68:69]
	s_waitcnt lgkmcnt(0)
	s_barrier
	ds_write2_b64 v20, v[56:57], v[58:59] offset1:30
	ds_write_b64 v20, v[46:47] offset:480
	ds_write2_b64 v36, v[60:61], v[24:25] offset1:30
	ds_write_b64 v36, v[42:43] offset:480
	;; [unrolled: 2-line block ×3, first 2 shown]
	s_and_saveexec_b64 s[2:3], s[0:1]
	s_cbranch_execz .LBB0_29
; %bb.28:
	v_add_u32_e32 v12, 0x1000, v21
	ds_write2_b64 v12, v[30:31], v[50:51] offset0:208 offset1:238
	ds_write_b64 v21, v[32:33] offset:6240
.LBB0_29:
	s_or_b64 exec, exec, s[2:3]
	v_add_u32_e32 v12, 0x800, v85
	s_waitcnt lgkmcnt(0)
	s_barrier
	ds_read2_b64 v[20:23], v12 offset0:14 offset1:95
	v_add_u32_e32 v12, 0xc00, v85
	v_add_u32_e32 v16, 0x1000, v85
	ds_read2_b64 v[12:15], v12 offset0:48 offset1:156
	ds_read2_b64 v[16:19], v16 offset0:109 offset1:190
	ds_read_b64 v[42:43], v85
	ds_read_b64 v[38:39], v86
	;; [unrolled: 1-line block ×3, first 2 shown]
	s_and_saveexec_b64 s[2:3], s[0:1]
	s_cbranch_execz .LBB0_31
; %bb.30:
	ds_read_b64 v[30:31], v85 offset:1944
	ds_read_b64 v[50:51], v85 offset:4104
	;; [unrolled: 1-line block ×3, first 2 shown]
.LBB0_31:
	s_or_b64 exec, exec, s[2:3]
	v_lshlrev_b32_e32 v46, 1, v82
	v_mov_b32_e32 v47, 0
	v_lshl_add_u64 v[36:37], v[46:47], 4, s[4:5]
	v_add_u32_e32 v46, -9, v82
	v_cmp_gt_u32_e64 s[2:3], 9, v82
	global_load_dwordx4 v[56:59], v[36:37], off offset:1392
	global_load_dwordx4 v[60:63], v[36:37], off offset:1408
	v_cndmask_b32_e64 v89, v46, v83, s[2:3]
	v_lshlrev_b32_e32 v46, 1, v89
	v_lshl_add_u64 v[46:47], v[46:47], 4, s[4:5]
	s_movk_i32 s2, 0xb7
	global_load_dwordx4 v[72:75], v[46:47], off offset:1392
	global_load_dwordx4 v[76:79], v[46:47], off offset:1408
	s_movk_i32 s3, 0x2d83
	v_mul_lo_u16_sdwa v47, v84, s2 dst_sel:DWORD dst_unused:UNUSED_PAD src0_sel:BYTE_0 src1_sel:DWORD
	v_mul_u32_u24_sdwa v64, v88, s3 dst_sel:DWORD dst_unused:UNUSED_PAD src0_sel:WORD_0 src1_sel:DWORD
	v_lshrrev_b16_e32 v106, 14, v47
	v_lshrrev_b32_e32 v47, 20, v64
	v_mul_lo_u16_e32 v64, 0x5a, v106
	v_mov_b32_e32 v46, 5
	v_sub_u16_e32 v107, v84, v64
	v_lshlrev_b32_sdwa v46, v46, v107 dst_sel:DWORD dst_unused:UNUSED_PAD src0_sel:DWORD src1_sel:BYTE_0
	global_load_dwordx4 v[90:93], v46, s[4:5] offset:1408
	global_load_dwordx4 v[94:97], v46, s[4:5] offset:1392
	v_mul_lo_u16_e32 v46, 0x5a, v47
	v_sub_u16_e32 v108, v88, v46
	v_lshlrev_b32_e32 v46, 5, v108
	global_load_dwordx4 v[98:101], v46, s[4:5] offset:1392
	global_load_dwordx4 v[102:105], v46, s[4:5] offset:1408
	s_mov_b32 s2, 0xe8584caa
	s_mov_b32 s3, 0x3febb67a
	;; [unrolled: 1-line block ×4, first 2 shown]
	s_waitcnt lgkmcnt(0)
	s_barrier
	s_waitcnt vmcnt(7)
	v_mul_f64 v[46:47], v[20:21], v[58:59]
	v_mul_f64 v[66:67], v[8:9], v[58:59]
	s_waitcnt vmcnt(6)
	v_mul_f64 v[58:59], v[14:15], v[62:63]
	v_mul_f64 v[70:71], v[2:3], v[62:63]
	v_fma_f64 v[64:65], v[8:9], v[56:57], -v[46:47]
	v_fma_f64 v[68:69], v[2:3], v[60:61], -v[58:59]
	v_fmac_f64_e32 v[66:67], v[20:21], v[56:57]
	v_fmac_f64_e32 v[70:71], v[14:15], v[60:61]
	s_waitcnt vmcnt(5)
	v_mul_f64 v[8:9], v[22:23], v[74:75]
	s_waitcnt vmcnt(4)
	v_mul_f64 v[14:15], v[16:17], v[78:79]
	v_add_f64 v[46:47], v[64:65], v[68:69]
	v_mul_f64 v[2:3], v[10:11], v[74:75]
	v_mul_f64 v[56:57], v[4:5], v[78:79]
	v_add_f64 v[20:21], v[48:49], v[64:65]
	v_add_f64 v[74:75], v[66:67], -v[70:71]
	v_fma_f64 v[58:59], v[10:11], v[72:73], -v[8:9]
	v_fma_f64 v[60:61], v[4:5], v[76:77], -v[14:15]
	v_fmac_f64_e32 v[48:49], -0.5, v[46:47]
	s_waitcnt vmcnt(2)
	v_mul_f64 v[8:9], v[12:13], v[96:97]
	v_mul_f64 v[10:11], v[18:19], v[92:93]
	;; [unrolled: 1-line block ×3, first 2 shown]
	s_waitcnt vmcnt(1)
	v_mul_f64 v[14:15], v[50:51], v[100:101]
	s_waitcnt vmcnt(0)
	v_mul_f64 v[46:47], v[32:33], v[104:105]
	v_fmac_f64_e32 v[2:3], v[22:23], v[72:73]
	v_fmac_f64_e32 v[56:57], v[16:17], v[76:77]
	v_add_f64 v[4:5], v[20:21], v[68:69]
	v_mul_f64 v[22:23], v[0:1], v[96:97]
	v_mul_f64 v[16:17], v[44:45], v[100:101]
	;; [unrolled: 1-line block ×3, first 2 shown]
	v_fma_f64 v[76:77], s[2:3], v[74:75], v[48:49]
	v_fmac_f64_e32 v[48:49], s[8:9], v[74:75]
	v_fma_f64 v[72:73], v[0:1], v[94:95], -v[8:9]
	v_fma_f64 v[74:75], v[6:7], v[90:91], -v[10:11]
	v_fmac_f64_e32 v[62:63], v[18:19], v[90:91]
	v_fma_f64 v[18:19], v[44:45], v[98:99], -v[14:15]
	v_fma_f64 v[26:27], v[26:27], v[102:103], -v[46:47]
	v_add_f64 v[80:81], v[58:59], v[60:61]
	v_fmac_f64_e32 v[22:23], v[12:13], v[94:95]
	v_fmac_f64_e32 v[16:17], v[50:51], v[98:99]
	;; [unrolled: 1-line block ×3, first 2 shown]
	v_add_f64 v[10:11], v[72:73], v[74:75]
	v_add_f64 v[32:33], v[18:19], v[26:27]
	;; [unrolled: 1-line block ×3, first 2 shown]
	v_add_f64 v[92:93], v[2:3], -v[56:57]
	v_fmac_f64_e32 v[40:41], -0.5, v[80:81]
	v_add_f64 v[0:1], v[34:35], v[72:73]
	v_add_f64 v[12:13], v[22:23], -v[62:63]
	v_add_f64 v[14:15], v[28:29], v[18:19]
	v_add_f64 v[44:45], v[16:17], -v[20:21]
	v_fmac_f64_e32 v[34:35], -0.5, v[10:11]
	v_fmac_f64_e32 v[28:29], -0.5, v[32:33]
	v_fma_f64 v[8:9], s[2:3], v[92:93], v[40:41]
	v_fma_f64 v[10:11], s[2:3], v[12:13], v[34:35]
	;; [unrolled: 1-line block ×3, first 2 shown]
	ds_write2_b64 v85, v[4:5], v[76:77] offset1:90
	ds_write_b64 v85, v[48:49] offset:1440
	v_mov_b32_e32 v4, 0x870
	v_cmp_lt_u32_e64 s[2:3], 8, v82
	v_lshlrev_b32_e32 v5, 3, v89
	v_add_f64 v[6:7], v[78:79], v[60:61]
	v_cndmask_b32_e64 v4, 0, v4, s[2:3]
	v_add3_u32 v49, 0, v4, v5
	v_mov_b32_e32 v5, 3
	v_mul_u32_u24_e32 v4, 0x870, v106
	v_lshlrev_b32_sdwa v5, v5, v107 dst_sel:DWORD dst_unused:UNUSED_PAD src0_sel:DWORD src1_sel:BYTE_0
	v_add_f64 v[46:47], v[0:1], v[74:75]
	v_add_f64 v[0:1], v[14:15], v[26:27]
	v_fmac_f64_e32 v[28:29], s[8:9], v[44:45]
	v_add3_u32 v50, 0, v4, v5
	v_lshl_add_u32 v48, v108, 3, 0
	v_fmac_f64_e32 v[40:41], s[8:9], v[92:93]
	v_fmac_f64_e32 v[34:35], s[8:9], v[12:13]
	ds_write2_b64 v49, v[6:7], v[8:9] offset1:90
	ds_write_b64 v49, v[40:41] offset:1440
	ds_write2_b64 v50, v[46:47], v[10:11] offset1:90
	ds_write_b64 v50, v[34:35] offset:1440
	s_and_saveexec_b64 s[2:3], s[0:1]
	s_cbranch_execz .LBB0_33
; %bb.32:
	v_add_u32_e32 v4, 0x1000, v48
	ds_write2_b64 v4, v[0:1], v[32:33] offset0:28 offset1:118
	ds_write_b64 v48, v[28:29] offset:5760
.LBB0_33:
	s_or_b64 exec, exec, s[2:3]
	v_add_u32_e32 v4, 0x800, v85
	s_waitcnt lgkmcnt(0)
	s_barrier
	ds_read2_b64 v[8:11], v4 offset0:14 offset1:95
	v_add_u32_e32 v4, 0xc00, v85
	v_add_u32_e32 v12, 0x1000, v85
	ds_read2_b64 v[4:7], v4 offset0:48 offset1:156
	ds_read2_b64 v[12:15], v12 offset0:109 offset1:190
	ds_read_b64 v[40:41], v85
	ds_read_b64 v[44:45], v86
	;; [unrolled: 1-line block ×3, first 2 shown]
	s_and_saveexec_b64 s[2:3], s[0:1]
	s_cbranch_execz .LBB0_35
; %bb.34:
	ds_read_b64 v[0:1], v85 offset:1944
	ds_read_b64 v[32:33], v85 offset:4104
	;; [unrolled: 1-line block ×3, first 2 shown]
.LBB0_35:
	s_or_b64 exec, exec, s[2:3]
	v_add_f64 v[34:35], v[42:43], v[66:67]
	v_add_f64 v[76:77], v[34:35], v[70:71]
	;; [unrolled: 1-line block ×3, first 2 shown]
	s_mov_b32 s2, 0xe8584caa
	v_fmac_f64_e32 v[42:43], -0.5, v[34:35]
	v_add_f64 v[34:35], v[64:65], -v[68:69]
	s_mov_b32 s3, 0xbfebb67a
	s_mov_b32 s9, 0x3febb67a
	;; [unrolled: 1-line block ×3, first 2 shown]
	v_fma_f64 v[64:65], s[2:3], v[34:35], v[42:43]
	v_fmac_f64_e32 v[42:43], s[8:9], v[34:35]
	v_add_f64 v[34:35], v[38:39], v[2:3]
	v_add_f64 v[2:3], v[2:3], v[56:57]
	v_fmac_f64_e32 v[38:39], -0.5, v[2:3]
	v_add_f64 v[2:3], v[58:59], -v[60:61]
	v_add_f64 v[66:67], v[34:35], v[56:57]
	v_fma_f64 v[56:57], s[2:3], v[2:3], v[38:39]
	v_fmac_f64_e32 v[38:39], s[8:9], v[2:3]
	v_add_f64 v[2:3], v[24:25], v[22:23]
	v_add_f64 v[58:59], v[2:3], v[62:63]
	v_add_f64 v[2:3], v[22:23], v[62:63]
	v_fmac_f64_e32 v[24:25], -0.5, v[2:3]
	v_add_f64 v[2:3], v[72:73], -v[74:75]
	v_fma_f64 v[22:23], s[2:3], v[2:3], v[24:25]
	v_fmac_f64_e32 v[24:25], s[8:9], v[2:3]
	v_add_f64 v[2:3], v[30:31], v[16:17]
	v_add_f64 v[16:17], v[16:17], v[20:21]
	v_fmac_f64_e32 v[30:31], -0.5, v[16:17]
	v_add_f64 v[16:17], v[18:19], -v[26:27]
	v_add_f64 v[2:3], v[2:3], v[20:21]
	v_fma_f64 v[34:35], s[2:3], v[16:17], v[30:31]
	v_fmac_f64_e32 v[30:31], s[8:9], v[16:17]
	s_waitcnt lgkmcnt(0)
	s_barrier
	ds_write2_b64 v85, v[76:77], v[64:65] offset1:90
	ds_write_b64 v85, v[42:43] offset:1440
	ds_write2_b64 v49, v[66:67], v[56:57] offset1:90
	ds_write_b64 v49, v[38:39] offset:1440
	ds_write2_b64 v50, v[58:59], v[22:23] offset1:90
	ds_write_b64 v50, v[24:25] offset:1440
	s_and_saveexec_b64 s[2:3], s[0:1]
	s_cbranch_execz .LBB0_37
; %bb.36:
	v_add_u32_e32 v16, 0x1000, v48
	ds_write2_b64 v16, v[2:3], v[34:35] offset0:28 offset1:118
	ds_write_b64 v48, v[30:31] offset:5760
.LBB0_37:
	s_or_b64 exec, exec, s[2:3]
	v_add_u32_e32 v16, 0x800, v85
	s_waitcnt lgkmcnt(0)
	s_barrier
	ds_read2_b64 v[20:23], v16 offset0:14 offset1:95
	v_add_u32_e32 v16, 0xc00, v85
	v_add_u32_e32 v24, 0x1000, v85
	ds_read2_b64 v[16:19], v16 offset0:48 offset1:156
	ds_read2_b64 v[24:27], v24 offset0:109 offset1:190
	ds_read_b64 v[42:43], v85
	ds_read_b64 v[48:49], v86
	;; [unrolled: 1-line block ×3, first 2 shown]
	s_and_saveexec_b64 s[2:3], s[0:1]
	s_cbranch_execz .LBB0_39
; %bb.38:
	ds_read_b64 v[2:3], v85 offset:1944
	ds_read_b64 v[34:35], v85 offset:4104
	;; [unrolled: 1-line block ×3, first 2 shown]
.LBB0_39:
	s_or_b64 exec, exec, s[2:3]
	s_and_saveexec_b64 s[2:3], vcc
	s_cbranch_execz .LBB0_42
; %bb.40:
	v_lshlrev_b32_e32 v38, 1, v84
	v_mov_b32_e32 v39, 0
	v_lshl_add_u64 v[56:57], v[38:39], 4, s[4:5]
	v_add_co_u32_e32 v66, vcc, 0x1000, v56
	s_mov_b64 s[2:3], 0x10b0
	s_movk_i32 s8, 0x1000
	v_addc_co_u32_e32 v67, vcc, 0, v57, vcc
	v_lshl_add_u64 v[72:73], v[36:37], 0, s[2:3]
	v_add_co_u32_e32 v36, vcc, s8, v36
	v_lshl_add_u64 v[64:65], v[56:57], 0, s[2:3]
	s_nop 0
	v_addc_co_u32_e32 v37, vcc, 0, v37, vcc
	v_lshlrev_b32_e32 v38, 1, v83
	global_load_dwordx4 v[56:59], v[66:67], off offset:176
	global_load_dwordx4 v[60:63], v[64:65], off offset:16
	s_nop 0
	global_load_dwordx4 v[64:67], v[36:37], off offset:176
	global_load_dwordx4 v[68:71], v[72:73], off offset:16
	v_lshl_add_u64 v[36:37], v[38:39], 4, s[4:5]
	v_lshl_add_u64 v[80:81], v[36:37], 0, s[2:3]
	v_add_co_u32_e32 v36, vcc, s8, v36
	v_mul_lo_u32 v38, s7, v54
	s_nop 0
	v_addc_co_u32_e32 v37, vcc, 0, v37, vcc
	global_load_dwordx4 v[72:75], v[36:37], off offset:176
	global_load_dwordx4 v[76:79], v[80:81], off offset:16
	v_mul_lo_u32 v55, s6, v55
	v_mad_u64_u32 v[36:37], s[6:7], s6, v54, 0
	v_add3_u32 v37, v37, v55, v38
	s_mov_b32 s6, 0xe8584caa
	s_mov_b32 s7, 0x3febb67a
	;; [unrolled: 1-line block ×5, first 2 shown]
	s_movk_i32 s15, 0x10e
	s_waitcnt vmcnt(3) lgkmcnt(5)
	v_mul_f64 v[54:55], v[20:21], v[66:67]
	v_mul_f64 v[66:67], v[8:9], v[66:67]
	v_fma_f64 v[84:85], v[8:9], v[64:65], -v[54:55]
	s_waitcnt lgkmcnt(4)
	v_mul_f64 v[8:9], v[16:17], v[58:59]
	s_waitcnt lgkmcnt(3)
	v_mul_f64 v[54:55], v[26:27], v[62:63]
	v_mul_f64 v[58:59], v[4:5], v[58:59]
	;; [unrolled: 1-line block ×3, first 2 shown]
	v_fma_f64 v[4:5], v[4:5], v[56:57], -v[8:9]
	s_waitcnt vmcnt(1)
	v_mul_f64 v[86:87], v[22:23], v[74:75]
	s_waitcnt vmcnt(0)
	v_mul_f64 v[90:91], v[24:25], v[78:79]
	v_mul_f64 v[74:75], v[10:11], v[74:75]
	v_fma_f64 v[54:55], v[14:15], v[60:61], -v[54:55]
	v_fmac_f64_e32 v[58:59], v[16:17], v[56:57]
	v_mul_f64 v[78:79], v[12:13], v[78:79]
	v_fmac_f64_e32 v[62:63], v[26:27], v[60:61]
	v_fma_f64 v[16:17], v[12:13], v[76:77], -v[90:91]
	v_fmac_f64_e32 v[74:75], v[22:23], v[72:73]
	v_add_f64 v[26:27], v[4:5], -v[54:55]
	s_waitcnt lgkmcnt(0)
	v_add_f64 v[12:13], v[50:51], v[58:59]
	v_add_f64 v[22:23], v[4:5], v[54:55]
	;; [unrolled: 1-line block ×5, first 2 shown]
	v_mul_f64 v[4:5], v[6:7], v[70:71]
	v_mul_f64 v[80:81], v[18:19], v[70:71]
	v_fmac_f64_e32 v[66:67], v[20:21], v[64:65]
	v_fmac_f64_e32 v[4:5], v[18:19], v[68:69]
	v_fma_f64 v[80:81], v[6:7], v[68:69], -v[80:81]
	v_add_f64 v[6:7], v[66:67], v[4:5]
	v_fma_f64 v[8:9], v[10:11], v[72:73], -v[86:87]
	v_fmac_f64_e32 v[78:79], v[24:25], v[76:77]
	v_fma_f64 v[18:19], -0.5, v[6:7], v[42:43]
	v_add_f64 v[6:7], v[42:43], v[66:67]
	v_add_f64 v[24:25], v[74:75], v[78:79]
	;; [unrolled: 1-line block ×7, first 2 shown]
	v_add_f64 v[56:57], v[58:59], -v[62:63]
	v_add_f64 v[58:59], v[8:9], -v[16:17]
	v_fma_f64 v[8:9], -0.5, v[22:23], v[46:47]
	v_fma_f64 v[24:25], -0.5, v[24:25], v[48:49]
	;; [unrolled: 1-line block ×3, first 2 shown]
	v_add_f64 v[44:45], v[76:77], v[16:17]
	v_fma_f64 v[16:17], -0.5, v[6:7], v[40:41]
	v_add_f64 v[4:5], v[66:67], -v[4:5]
	v_add_f64 v[60:61], v[48:49], v[74:75]
	v_fma_f64 v[48:49], s[8:9], v[56:57], v[8:9]
	v_fmac_f64_e32 v[8:9], s[6:7], v[56:57]
	v_fma_f64 v[56:57], s[6:7], v[58:59], v[24:25]
	v_fmac_f64_e32 v[24:25], s[8:9], v[58:59]
	;; [unrolled: 2-line block ×3, first 2 shown]
	v_add_f64 v[4:5], v[40:41], v[84:85]
	v_add_f64 v[40:41], v[4:5], v[80:81]
	v_mul_hi_u32 v4, v82, s14
	v_lshrrev_b32_e32 v4, 8, v4
	v_fma_f64 v[10:11], -0.5, v[10:11], v[50:51]
	v_mul_u32_u24_e32 v4, 0x10e, v4
	v_fma_f64 v[50:51], s[6:7], v[26:27], v[10:11]
	v_fmac_f64_e32 v[10:11], s[8:9], v[26:27]
	v_sub_u32_e32 v26, v82, v4
	v_mad_u64_u32 v[6:7], s[12:13], s16, v26, 0
	v_mov_b32_e32 v4, v7
	v_mad_u64_u32 v[4:5], s[12:13], s17, v26, v[4:5]
	v_mov_b32_e32 v7, v4
	v_lshl_add_u64 v[4:5], v[36:37], 4, s[10:11]
	v_lshl_add_u64 v[4:5], v[52:53], 4, v[4:5]
	;; [unrolled: 1-line block ×3, first 2 shown]
	v_add_u32_e32 v21, 0x10e, v26
	global_store_dwordx4 v[6:7], v[40:43], off
	v_mad_u64_u32 v[6:7], s[10:11], s16, v21, 0
	v_mov_b32_e32 v20, v7
	v_mad_u64_u32 v[20:21], s[10:11], s17, v21, v[20:21]
	v_add_f64 v[92:93], v[84:85], -v[80:81]
	v_mov_b32_e32 v7, v20
	v_add_f64 v[46:47], v[60:61], v[78:79]
	v_fma_f64 v[60:61], s[6:7], v[92:93], v[18:19]
	v_fmac_f64_e32 v[18:19], s[8:9], v[92:93]
	v_lshl_add_u64 v[6:7], v[6:7], 4, v[4:5]
	global_store_dwordx4 v[6:7], v[16:19], off
	s_movk_i32 s12, 0x32a
	v_add_f64 v[74:75], v[74:75], -v[78:79]
	v_add_u32_e32 v17, 0x21c, v26
	v_mad_u64_u32 v[6:7], s[10:11], s16, v17, 0
	v_mov_b32_e32 v16, v7
	v_mad_u64_u32 v[16:17], s[10:11], s17, v17, v[16:17]
	v_mov_b32_e32 v7, v16
	v_lshl_add_u64 v[6:7], v[6:7], 4, v[4:5]
	global_store_dwordx4 v[6:7], v[58:61], off
	v_add_u32_e32 v6, 0x51, v82
	v_mul_hi_u32 v7, v6, s14
	v_lshrrev_b32_e32 v7, 8, v7
	v_mul_u32_u24_e32 v16, 0x10e, v7
	v_sub_u32_e32 v6, v6, v16
	v_mad_u32_u24 v18, v7, s12, v6
	v_mad_u64_u32 v[6:7], s[10:11], s16, v18, 0
	v_mov_b32_e32 v16, v7
	v_mad_u64_u32 v[16:17], s[10:11], s17, v18, v[16:17]
	v_mov_b32_e32 v7, v16
	v_lshl_add_u64 v[6:7], v[6:7], 4, v[4:5]
	v_add_u32_e32 v17, 0x10e, v18
	global_store_dwordx4 v[6:7], v[44:47], off
	v_mad_u64_u32 v[6:7], s[10:11], s16, v17, 0
	v_mov_b32_e32 v16, v7
	v_mad_u64_u32 v[16:17], s[10:11], s17, v17, v[16:17]
	v_mov_b32_e32 v7, v16
	v_fma_f64 v[54:55], s[8:9], v[74:75], v[22:23]
	v_fmac_f64_e32 v[22:23], s[6:7], v[74:75]
	v_lshl_add_u64 v[6:7], v[6:7], 4, v[4:5]
	v_add_u32_e32 v17, 0x21c, v18
	global_store_dwordx4 v[6:7], v[22:25], off
	v_mad_u64_u32 v[6:7], s[10:11], s16, v17, 0
	v_mov_b32_e32 v16, v7
	v_mad_u64_u32 v[16:17], s[10:11], s17, v17, v[16:17]
	v_mov_b32_e32 v7, v16
	v_lshl_add_u64 v[6:7], v[6:7], 4, v[4:5]
	global_store_dwordx4 v[6:7], v[54:57], off
	v_add_u32_e32 v6, 0xa2, v82
	v_mul_hi_u32 v7, v6, s14
	v_lshrrev_b32_e32 v7, 8, v7
	v_mul_u32_u24_e32 v16, 0x10e, v7
	v_sub_u32_e32 v6, v6, v16
	v_mad_u32_u24 v18, v7, s12, v6
	v_mad_u64_u32 v[6:7], s[10:11], s16, v18, 0
	v_mov_b32_e32 v16, v7
	v_mad_u64_u32 v[16:17], s[10:11], s17, v18, v[16:17]
	v_mov_b32_e32 v7, v16
	v_lshl_add_u64 v[6:7], v[6:7], 4, v[4:5]
	global_store_dwordx4 v[6:7], v[12:15], off
	s_nop 1
	v_add_u32_e32 v13, 0x10e, v18
	v_mad_u64_u32 v[6:7], s[10:11], s16, v13, 0
	v_mov_b32_e32 v12, v7
	v_mad_u64_u32 v[12:13], s[10:11], s17, v13, v[12:13]
	v_mov_b32_e32 v7, v12
	v_lshl_add_u64 v[6:7], v[6:7], 4, v[4:5]
	global_store_dwordx4 v[6:7], v[8:11], off
	s_nop 1
	v_add_u32_e32 v9, 0x21c, v18
	v_mad_u64_u32 v[6:7], s[10:11], s16, v9, 0
	v_mov_b32_e32 v8, v7
	v_mad_u64_u32 v[8:9], s[10:11], s17, v9, v[8:9]
	v_mov_b32_e32 v7, v8
	v_lshl_add_u64 v[6:7], v[6:7], 4, v[4:5]
	global_store_dwordx4 v[6:7], v[48:51], off
	v_add_u32_e32 v6, 0xf3, v82
	v_cmp_gt_u32_e32 vcc, s15, v6
	s_and_b64 exec, exec, vcc
	s_cbranch_execz .LBB0_42
; %bb.41:
	v_subrev_u32_e32 v7, 27, v82
	v_cndmask_b32_e64 v7, v7, v88, s[0:1]
	v_lshlrev_b32_e32 v38, 1, v7
	v_lshl_add_u64 v[12:13], v[38:39], 4, s[4:5]
	v_add_co_u32_e32 v8, vcc, 0x1000, v12
	v_mad_u64_u32 v[16:17], s[0:1], s16, v6, 0
	s_nop 0
	v_addc_co_u32_e32 v9, vcc, 0, v13, vcc
	v_lshl_add_u64 v[12:13], v[12:13], 0, s[2:3]
	global_load_dwordx4 v[8:11], v[8:9], off offset:176
	v_add_u32_e32 v19, 0x201, v82
	global_load_dwordx4 v[12:15], v[12:13], off offset:16
	v_add_u32_e32 v25, 0x30f, v82
	v_mov_b32_e32 v18, v17
	v_mad_u64_u32 v[20:21], s[0:1], s16, v19, 0
	v_mad_u64_u32 v[22:23], s[0:1], s16, v25, 0
	;; [unrolled: 1-line block ×3, first 2 shown]
	v_mov_b32_e32 v18, v21
	v_mov_b32_e32 v24, v23
	;; [unrolled: 1-line block ×3, first 2 shown]
	v_mad_u64_u32 v[6:7], s[0:1], s17, v19, v[18:19]
	v_mad_u64_u32 v[18:19], s[0:1], s17, v25, v[24:25]
	v_mov_b32_e32 v21, v6
	v_mov_b32_e32 v23, v18
	v_lshl_add_u64 v[16:17], v[16:17], 4, v[4:5]
	v_lshl_add_u64 v[18:19], v[20:21], 4, v[4:5]
	;; [unrolled: 1-line block ×3, first 2 shown]
	s_waitcnt vmcnt(1)
	v_mul_f64 v[4:5], v[34:35], v[10:11]
	v_mul_f64 v[6:7], v[32:33], v[10:11]
	s_waitcnt vmcnt(0)
	v_mul_f64 v[10:11], v[30:31], v[14:15]
	v_mul_f64 v[14:15], v[28:29], v[14:15]
	v_fma_f64 v[4:5], v[32:33], v[8:9], -v[4:5]
	v_fmac_f64_e32 v[6:7], v[34:35], v[8:9]
	v_fma_f64 v[8:9], v[28:29], v[12:13], -v[10:11]
	v_fmac_f64_e32 v[14:15], v[30:31], v[12:13]
	v_add_f64 v[10:11], v[0:1], v[4:5]
	v_add_f64 v[12:13], v[4:5], v[8:9]
	;; [unrolled: 1-line block ×4, first 2 shown]
	v_add_f64 v[22:23], v[6:7], -v[14:15]
	v_add_f64 v[28:29], v[4:5], -v[8:9]
	v_add_f64 v[4:5], v[10:11], v[8:9]
	v_fmac_f64_e32 v[0:1], -0.5, v[12:13]
	v_add_f64 v[6:7], v[24:25], v[14:15]
	v_fmac_f64_e32 v[2:3], -0.5, v[26:27]
	v_fma_f64 v[8:9], s[6:7], v[22:23], v[0:1]
	v_fmac_f64_e32 v[0:1], s[8:9], v[22:23]
	v_fma_f64 v[10:11], s[8:9], v[28:29], v[2:3]
	v_fmac_f64_e32 v[2:3], s[6:7], v[28:29]
	global_store_dwordx4 v[16:17], v[4:7], off
	global_store_dwordx4 v[18:19], v[8:11], off
	;; [unrolled: 1-line block ×3, first 2 shown]
.LBB0_42:
	s_endpgm
	.section	.rodata,"a",@progbits
	.p2align	6, 0x0
	.amdhsa_kernel fft_rtc_fwd_len810_factors_3_10_3_3_3_wgs_81_tpt_81_halfLds_dp_op_CI_CI_sbrr_dirReg
		.amdhsa_group_segment_fixed_size 0
		.amdhsa_private_segment_fixed_size 0
		.amdhsa_kernarg_size 104
		.amdhsa_user_sgpr_count 2
		.amdhsa_user_sgpr_dispatch_ptr 0
		.amdhsa_user_sgpr_queue_ptr 0
		.amdhsa_user_sgpr_kernarg_segment_ptr 1
		.amdhsa_user_sgpr_dispatch_id 0
		.amdhsa_user_sgpr_kernarg_preload_length 0
		.amdhsa_user_sgpr_kernarg_preload_offset 0
		.amdhsa_user_sgpr_private_segment_size 0
		.amdhsa_uses_dynamic_stack 0
		.amdhsa_enable_private_segment 0
		.amdhsa_system_sgpr_workgroup_id_x 1
		.amdhsa_system_sgpr_workgroup_id_y 0
		.amdhsa_system_sgpr_workgroup_id_z 0
		.amdhsa_system_sgpr_workgroup_info 0
		.amdhsa_system_vgpr_workitem_id 0
		.amdhsa_next_free_vgpr 128
		.amdhsa_next_free_sgpr 32
		.amdhsa_accum_offset 128
		.amdhsa_reserve_vcc 1
		.amdhsa_float_round_mode_32 0
		.amdhsa_float_round_mode_16_64 0
		.amdhsa_float_denorm_mode_32 3
		.amdhsa_float_denorm_mode_16_64 3
		.amdhsa_dx10_clamp 1
		.amdhsa_ieee_mode 1
		.amdhsa_fp16_overflow 0
		.amdhsa_tg_split 0
		.amdhsa_exception_fp_ieee_invalid_op 0
		.amdhsa_exception_fp_denorm_src 0
		.amdhsa_exception_fp_ieee_div_zero 0
		.amdhsa_exception_fp_ieee_overflow 0
		.amdhsa_exception_fp_ieee_underflow 0
		.amdhsa_exception_fp_ieee_inexact 0
		.amdhsa_exception_int_div_zero 0
	.end_amdhsa_kernel
	.text
.Lfunc_end0:
	.size	fft_rtc_fwd_len810_factors_3_10_3_3_3_wgs_81_tpt_81_halfLds_dp_op_CI_CI_sbrr_dirReg, .Lfunc_end0-fft_rtc_fwd_len810_factors_3_10_3_3_3_wgs_81_tpt_81_halfLds_dp_op_CI_CI_sbrr_dirReg
                                        ; -- End function
	.section	.AMDGPU.csdata,"",@progbits
; Kernel info:
; codeLenInByte = 9012
; NumSgprs: 38
; NumVgprs: 128
; NumAgprs: 0
; TotalNumVgprs: 128
; ScratchSize: 0
; MemoryBound: 1
; FloatMode: 240
; IeeeMode: 1
; LDSByteSize: 0 bytes/workgroup (compile time only)
; SGPRBlocks: 4
; VGPRBlocks: 15
; NumSGPRsForWavesPerEU: 38
; NumVGPRsForWavesPerEU: 128
; AccumOffset: 128
; Occupancy: 4
; WaveLimiterHint : 1
; COMPUTE_PGM_RSRC2:SCRATCH_EN: 0
; COMPUTE_PGM_RSRC2:USER_SGPR: 2
; COMPUTE_PGM_RSRC2:TRAP_HANDLER: 0
; COMPUTE_PGM_RSRC2:TGID_X_EN: 1
; COMPUTE_PGM_RSRC2:TGID_Y_EN: 0
; COMPUTE_PGM_RSRC2:TGID_Z_EN: 0
; COMPUTE_PGM_RSRC2:TIDIG_COMP_CNT: 0
; COMPUTE_PGM_RSRC3_GFX90A:ACCUM_OFFSET: 31
; COMPUTE_PGM_RSRC3_GFX90A:TG_SPLIT: 0
	.text
	.p2alignl 6, 3212836864
	.fill 256, 4, 3212836864
	.type	__hip_cuid_78e28d37ba0184cf,@object ; @__hip_cuid_78e28d37ba0184cf
	.section	.bss,"aw",@nobits
	.globl	__hip_cuid_78e28d37ba0184cf
__hip_cuid_78e28d37ba0184cf:
	.byte	0                               ; 0x0
	.size	__hip_cuid_78e28d37ba0184cf, 1

	.ident	"AMD clang version 19.0.0git (https://github.com/RadeonOpenCompute/llvm-project roc-6.4.0 25133 c7fe45cf4b819c5991fe208aaa96edf142730f1d)"
	.section	".note.GNU-stack","",@progbits
	.addrsig
	.addrsig_sym __hip_cuid_78e28d37ba0184cf
	.amdgpu_metadata
---
amdhsa.kernels:
  - .agpr_count:     0
    .args:
      - .actual_access:  read_only
        .address_space:  global
        .offset:         0
        .size:           8
        .value_kind:     global_buffer
      - .offset:         8
        .size:           8
        .value_kind:     by_value
      - .actual_access:  read_only
        .address_space:  global
        .offset:         16
        .size:           8
        .value_kind:     global_buffer
      - .actual_access:  read_only
        .address_space:  global
        .offset:         24
        .size:           8
        .value_kind:     global_buffer
      - .actual_access:  read_only
        .address_space:  global
        .offset:         32
        .size:           8
        .value_kind:     global_buffer
      - .offset:         40
        .size:           8
        .value_kind:     by_value
      - .actual_access:  read_only
        .address_space:  global
        .offset:         48
        .size:           8
        .value_kind:     global_buffer
      - .actual_access:  read_only
        .address_space:  global
        .offset:         56
        .size:           8
        .value_kind:     global_buffer
      - .offset:         64
        .size:           4
        .value_kind:     by_value
      - .actual_access:  read_only
        .address_space:  global
        .offset:         72
        .size:           8
        .value_kind:     global_buffer
      - .actual_access:  read_only
        .address_space:  global
        .offset:         80
        .size:           8
        .value_kind:     global_buffer
      - .actual_access:  read_only
        .address_space:  global
        .offset:         88
        .size:           8
        .value_kind:     global_buffer
      - .actual_access:  write_only
        .address_space:  global
        .offset:         96
        .size:           8
        .value_kind:     global_buffer
    .group_segment_fixed_size: 0
    .kernarg_segment_align: 8
    .kernarg_segment_size: 104
    .language:       OpenCL C
    .language_version:
      - 2
      - 0
    .max_flat_workgroup_size: 81
    .name:           fft_rtc_fwd_len810_factors_3_10_3_3_3_wgs_81_tpt_81_halfLds_dp_op_CI_CI_sbrr_dirReg
    .private_segment_fixed_size: 0
    .sgpr_count:     38
    .sgpr_spill_count: 0
    .symbol:         fft_rtc_fwd_len810_factors_3_10_3_3_3_wgs_81_tpt_81_halfLds_dp_op_CI_CI_sbrr_dirReg.kd
    .uniform_work_group_size: 1
    .uses_dynamic_stack: false
    .vgpr_count:     128
    .vgpr_spill_count: 0
    .wavefront_size: 64
amdhsa.target:   amdgcn-amd-amdhsa--gfx950
amdhsa.version:
  - 1
  - 2
...

	.end_amdgpu_metadata
